;; amdgpu-corpus repo=ROCm/rocFFT kind=compiled arch=gfx950 opt=O3
	.text
	.amdgcn_target "amdgcn-amd-amdhsa--gfx950"
	.amdhsa_code_object_version 6
	.protected	fft_rtc_back_len343_factors_7_7_7_wgs_245_tpt_49_dp_op_CI_CI_sbrc_z_xy_diag_dirReg ; -- Begin function fft_rtc_back_len343_factors_7_7_7_wgs_245_tpt_49_dp_op_CI_CI_sbrc_z_xy_diag_dirReg
	.globl	fft_rtc_back_len343_factors_7_7_7_wgs_245_tpt_49_dp_op_CI_CI_sbrc_z_xy_diag_dirReg
	.p2align	8
	.type	fft_rtc_back_len343_factors_7_7_7_wgs_245_tpt_49_dp_op_CI_CI_sbrc_z_xy_diag_dirReg,@function
fft_rtc_back_len343_factors_7_7_7_wgs_245_tpt_49_dp_op_CI_CI_sbrc_z_xy_diag_dirReg: ; @fft_rtc_back_len343_factors_7_7_7_wgs_245_tpt_49_dp_op_CI_CI_sbrc_z_xy_diag_dirReg
; %bb.0:
	s_load_dwordx8 s[4:11], s[0:1], 0x0
	s_mov_b32 s17, 0
	s_movk_i32 s33, 0x157
	s_mov_b32 s24, 0xaaaaaaaa
	s_mov_b32 s25, 0xbff2aaaa
	s_waitcnt lgkmcnt(0)
	s_load_dwordx4 s[12:15], s[8:9], 0x8
	s_mov_b32 s26, 0x5476071b
	s_mov_b32 s30, 0xb247c609
	;; [unrolled: 1-line block ×4, first 2 shown]
	s_waitcnt lgkmcnt(0)
	s_add_i32 s3, s12, -1
	s_mul_hi_u32 s3, s3, 0xcccccccd
	s_lshr_b32 s3, s3, 2
	s_add_i32 s3, s3, 1
	s_mul_i32 s3, s3, s14
	v_cvt_f32_u32_e32 v1, s3
	s_load_dwordx4 s[12:15], s[10:11], 0x0
	s_load_dword s8, s[10:11], 0x10
	s_sub_i32 s9, 0, s3
	s_mov_b32 s28, s26
	v_rcp_iflag_f32_e32 v1, v1
	s_mov_b32 s31, 0xbfd5d0dc
	s_mov_b32 s37, 0x3fd5d0dc
	;; [unrolled: 1-line block ×3, first 2 shown]
	v_mul_f32_e32 v1, 0x4f7ffffe, v1
	v_cvt_u32_f32_e32 v1, v1
	s_mov_b32 s34, 0x37c3f68c
	s_mov_b32 s35, 0xbfdc38aa
	s_waitcnt lgkmcnt(0)
	v_readfirstlane_b32 s15, v1
	s_mul_i32 s9, s9, s15
	s_mul_hi_u32 s9, s15, s9
	s_add_i32 s15, s15, s9
	s_mul_hi_u32 s9, s2, s15
	s_mul_i32 s15, s9, s3
	s_sub_i32 s15, s2, s15
	s_add_i32 s16, s9, 1
	s_sub_i32 s18, s15, s3
	s_cmp_ge_u32 s15, s3
	s_cselect_b32 s9, s16, s9
	s_cselect_b32 s15, s18, s15
	s_add_i32 s16, s9, 1
	s_cmp_ge_u32 s15, s3
	s_cselect_b32 s38, s16, s9
	s_mul_i32 s3, s38, s3
	s_sub_i32 s2, s2, s3
	s_mul_hi_u32 s3, s2, 0x5397829d
	s_lshr_b32 s3, s3, 4
	s_lshl_b64 s[18:19], s[6:7], 3
	s_mul_i32 s6, s3, 49
	s_sub_i32 s2, s2, s6
	s_add_i32 s3, s3, s2
	s_mul_i32 s6, s2, 5
	s_mul_hi_u32 s2, s3, 0xbf112a8b
	s_lshr_b32 s2, s2, 8
	s_mulk_i32 s2, 0x157
	s_sub_i32 s7, s3, s2
	s_mul_i32 s9, s6, s14
	s_mul_i32 s2, s7, s8
	s_add_i32 s16, s2, s9
	s_add_u32 s2, s10, s18
	s_addc_u32 s3, s11, s19
	s_load_dwordx2 s[22:23], s[2:3], 0x0
	s_load_dwordx4 s[8:11], s[0:1], 0x58
	s_load_dwordx2 s[20:21], s[0:1], 0x20
	v_mad_u64_u32 v[2:3], s[0:1], s12, v0, 0
	s_waitcnt lgkmcnt(0)
	s_mul_i32 s0, s23, s38
	s_mul_hi_u32 s1, s22, s38
	s_add_i32 s1, s1, s0
	s_add_u32 s2, s20, s18
	s_addc_u32 s3, s21, s19
	s_load_dwordx2 s[18:19], s[2:3], 0x0
	v_mov_b32_e32 v4, v3
	v_mad_u64_u32 v[4:5], s[2:3], s13, v0, v[4:5]
	s_mul_i32 s0, s22, s38
	s_waitcnt lgkmcnt(0)
	s_mul_i32 s2, s19, s38
	s_mul_hi_u32 s3, s18, s38
	s_lshl_b64 s[0:1], s[0:1], 4
	s_add_i32 s15, s3, s2
	s_add_u32 s2, s8, s0
	s_addc_u32 s3, s9, s1
	s_lshl_b64 s[0:1], s[16:17], 4
	s_add_u32 s0, s2, s0
	v_mov_b32_e32 v3, v4
	s_addc_u32 s1, s3, s1
	v_add_u16_e32 v1, 0xf5, v0
	v_lshl_add_u64 v[4:5], v[2:3], 4, s[0:1]
	v_mul_u32_u24_e32 v2, 0x17f, v1
	v_lshrrev_b32_e32 v34, 17, v2
	v_mul_lo_u16_e32 v2, 0x157, v34
	v_sub_u16_e32 v1, v1, v2
	v_mad_u64_u32 v[6:7], s[2:3], s12, v1, 0
	v_mov_b32_e32 v3, 0
	v_mov_b32_e32 v2, v7
	v_mad_u64_u32 v[8:9], s[2:3], s13, v1, v[2:3]
	v_mov_b32_e32 v7, v8
	v_mul_lo_u32 v2, s14, v34
	v_lshl_add_u64 v[6:7], v[6:7], 4, s[0:1]
	s_mov_b32 s2, 0x2df01ea
	v_lshl_add_u64 v[14:15], v[2:3], 4, v[6:7]
	v_pk_add_u16 v2, v0, s2 op_sel_hi:[0,1]
	global_load_dwordx4 v[6:9], v[4:5], off
	global_load_dwordx4 v[10:13], v[14:15], off
	v_and_b32_e32 v4, 0x3ff, v2
	s_movk_i32 s2, 0x5f9
	v_mul_u32_u24_e32 v4, 0x5f9, v4
	v_lshrrev_b32_e32 v16, 19, v4
	v_mul_u32_u24_sdwa v4, v2, s2 dst_sel:DWORD dst_unused:UNUSED_PAD src0_sel:WORD_1 src1_sel:DWORD
	v_lshrrev_b32_e32 v18, 19, v4
	s_mov_b32 s8, 0x5040100
	v_perm_b32 v35, v18, v16, s8
	v_pk_mul_lo_u16 v4, v35, s33 op_sel_hi:[1,0]
	v_mad_legacy_u16 v1, v1, 5, v34
	v_pk_sub_i16 v36, v2, v4
	v_lshl_add_u32 v1, v1, 4, 0
	v_and_b32_e32 v14, 0xffff, v36
	v_mad_u64_u32 v[4:5], s[2:3], s12, v14, 0
	v_mov_b32_e32 v2, v5
	v_mad_u64_u32 v[14:15], s[2:3], s13, v14, v[2:3]
	v_mov_b32_e32 v5, v14
	v_mul_lo_u32 v2, s14, v16
	v_lshrrev_b32_e32 v16, 16, v36
	v_lshl_add_u64 v[4:5], v[4:5], 4, s[0:1]
	v_mad_u64_u32 v[14:15], s[2:3], s12, v16, 0
	v_lshl_add_u64 v[4:5], v[2:3], 4, v[4:5]
	v_mov_b32_e32 v2, v15
	v_mad_u64_u32 v[16:17], s[2:3], s13, v16, v[2:3]
	v_mov_b32_e32 v15, v16
	v_mul_lo_u32 v2, s14, v18
	v_lshl_add_u64 v[14:15], v[14:15], 4, s[0:1]
	s_mov_b32 s2, 0x4c903d4
	v_lshl_add_u64 v[22:23], v[2:3], 4, v[14:15]
	v_pk_add_u16 v2, v0, s2 op_sel_hi:[0,1]
	global_load_dwordx4 v[14:17], v[4:5], off
	global_load_dwordx4 v[18:21], v[22:23], off
	v_and_b32_e32 v4, 0x7ff, v2
	v_mul_u32_u24_e32 v4, 0x5f9, v4
	s_movk_i32 s2, 0x17e3
	v_lshrrev_b32_e32 v24, 19, v4
	v_mul_u32_u24_sdwa v4, v2, s2 dst_sel:DWORD dst_unused:UNUSED_PAD src0_sel:WORD_1 src1_sel:DWORD
	v_lshrrev_b32_e32 v26, 21, v4
	v_perm_b32 v37, v26, v24, s8
	v_pk_mul_lo_u16 v4, v37, s33 op_sel_hi:[1,0]
	s_mov_b32 s8, 0x36b3c0b5
	v_pk_sub_i16 v38, v2, v4
	s_mov_b32 s22, 0xe976ee23
	v_and_b32_e32 v22, 0xffff, v38
	v_mad_u64_u32 v[4:5], s[2:3], s12, v22, 0
	v_mov_b32_e32 v2, v5
	v_mad_u64_u32 v[22:23], s[2:3], s13, v22, v[2:3]
	v_mov_b32_e32 v5, v22
	v_mul_lo_u32 v2, s14, v24
	v_lshrrev_b32_e32 v24, 16, v38
	v_lshl_add_u64 v[4:5], v[4:5], 4, s[0:1]
	v_mad_u64_u32 v[22:23], s[2:3], s12, v24, 0
	v_lshl_add_u64 v[4:5], v[2:3], 4, v[4:5]
	v_mov_b32_e32 v2, v23
	v_mad_u64_u32 v[24:25], s[2:3], s13, v24, v[2:3]
	v_mov_b32_e32 v23, v24
	v_mul_lo_u32 v2, s14, v26
	v_lshl_add_u64 v[22:23], v[22:23], 4, s[0:1]
	v_lshl_add_u64 v[30:31], v[2:3], 4, v[22:23]
	v_add_u16_e32 v2, 0x5be, v0
	global_load_dwordx4 v[22:25], v[4:5], off
	global_load_dwordx4 v[26:29], v[30:31], off
	v_mul_u32_u24_e32 v4, 0x5f9, v2
	v_lshrrev_b32_e32 v39, 19, v4
	v_mul_lo_u16_e32 v4, 0x157, v39
	v_sub_u16_e32 v40, v2, v4
	v_mad_u64_u32 v[4:5], s[2:3], s12, v40, 0
	v_mov_b32_e32 v2, v5
	v_mad_u64_u32 v[30:31], s[2:3], s13, v40, v[2:3]
	v_mov_b32_e32 v5, v30
	v_mul_lo_u32 v2, s14, v39
	v_lshl_add_u64 v[4:5], v[4:5], 4, s[0:1]
	v_lshl_add_u64 v[4:5], v[2:3], 4, v[4:5]
	global_load_dwordx4 v[30:33], v[4:5], off
	v_mul_lo_u16_e32 v5, 5, v0
	v_lshl_add_u32 v5, v5, 4, 0
	s_load_dwordx4 s[0:3], s[20:21], 0x0
	s_load_dword s16, s[20:21], 0x10
	s_waitcnt vmcnt(6)
	ds_write_b128 v5, v[6:9]
	s_waitcnt vmcnt(5)
	ds_write_b128 v1, v[10:13]
	v_pk_mad_u16 v1, v36, 5, v35 op_sel_hi:[1,0,1]
	v_mul_u32_u24_e32 v2, 0x3334, v0
	v_and_b32_e32 v5, 0xffff, v1
	v_bfe_u32 v1, v1, 16, 16
	v_lshl_add_u32 v5, v5, 4, 0
	v_lshl_add_u32 v1, v1, 4, 0
	v_lshrrev_b32_e32 v2, 16, v2
	v_mul_lo_u16_e32 v4, 5, v2
	v_sub_u16_e32 v4, v0, v4
	s_mov_b32 s12, 0x37e14327
	s_mov_b32 s20, 0x429ad128
	;; [unrolled: 1-line block ×6, first 2 shown]
	s_waitcnt lgkmcnt(0)
	s_movk_i32 s3, 0x1e0
	s_mul_i32 s2, s7, s2
	s_mov_b32 s7, s17
	s_mul_i32 s14, s18, s38
	v_mul_u32_u24_e32 v0, 0x10c, v0
	v_mul_lo_u16_sdwa v0, v0, s33 dst_sel:DWORD dst_unused:UNUSED_PAD src0_sel:WORD_1 src1_sel:DWORD
	s_waitcnt vmcnt(4)
	ds_write_b128 v5, v[14:17]
	s_waitcnt vmcnt(3)
	ds_write_b128 v1, v[18:21]
	v_pk_mad_u16 v1, v38, 5, v37 op_sel_hi:[1,0,1]
	s_nop 0
	v_and_b32_e32 v5, 0xffff, v1
	v_bfe_u32 v1, v1, 16, 16
	v_lshl_add_u32 v5, v5, 4, 0
	v_lshl_add_u32 v1, v1, 4, 0
	s_waitcnt vmcnt(2)
	ds_write_b128 v5, v[22:25]
	s_waitcnt vmcnt(1)
	ds_write_b128 v1, v[26:29]
	v_mad_legacy_u16 v1, v40, 5, v39
	v_lshl_add_u32 v1, v1, 4, 0
	v_lshlrev_b32_e32 v5, 4, v4
	s_waitcnt vmcnt(0)
	ds_write_b128 v1, v[30:33]
	v_mul_u32_u24_e32 v1, 0x50, v2
	v_add3_u32 v1, 0, v1, v5
	s_waitcnt lgkmcnt(0)
	s_barrier
	ds_read_b128 v[6:9], v1
	ds_read_b128 v[10:13], v1 offset:3920
	ds_read_b128 v[14:17], v1 offset:23520
	;; [unrolled: 1-line block ×6, first 2 shown]
	s_waitcnt lgkmcnt(4)
	v_add_f64 v[34:35], v[10:11], v[14:15]
	v_add_f64 v[10:11], v[10:11], -v[14:15]
	v_add_f64 v[36:37], v[12:13], v[16:17]
	v_add_f64 v[12:13], v[12:13], -v[16:17]
	s_waitcnt lgkmcnt(0)
	v_add_f64 v[14:15], v[18:19], v[30:31]
	v_add_f64 v[16:17], v[20:21], v[32:33]
	v_add_f64 v[18:19], v[18:19], -v[30:31]
	v_add_f64 v[30:31], v[22:23], v[26:27]
	v_add_f64 v[22:23], v[26:27], -v[22:23]
	;; [unrolled: 2-line block ×4, first 2 shown]
	v_add_f64 v[28:29], v[16:17], v[36:37]
	v_add_f64 v[26:27], v[30:31], v[26:27]
	;; [unrolled: 1-line block ×4, first 2 shown]
	v_add_f64 v[38:39], v[14:15], -v[34:35]
	v_add_f64 v[40:41], v[16:17], -v[36:37]
	;; [unrolled: 1-line block ×6, first 2 shown]
	v_add_f64 v[42:43], v[22:23], v[18:19]
	v_add_f64 v[44:45], v[24:25], v[20:21]
	v_add_f64 v[46:47], v[22:23], -v[18:19]
	v_add_f64 v[48:49], v[24:25], -v[20:21]
	;; [unrolled: 1-line block ×4, first 2 shown]
	v_add_f64 v[8:9], v[8:9], v[28:29]
	v_mov_b64_e32 v[50:51], v[6:7]
	v_add_f64 v[22:23], v[10:11], -v[22:23]
	v_add_f64 v[24:25], v[12:13], -v[24:25]
	v_add_f64 v[10:11], v[42:43], v[10:11]
	v_add_f64 v[12:13], v[44:45], v[12:13]
	v_mul_f64 v[30:31], v[34:35], s[12:13]
	v_mul_f64 v[32:33], v[36:37], s[12:13]
	v_mul_f64 v[34:35], v[14:15], s[8:9]
	v_mul_f64 v[36:37], v[16:17], s[8:9]
	v_mul_f64 v[42:43], v[46:47], s[22:23]
	v_mul_f64 v[44:45], v[48:49], s[22:23]
	v_mul_f64 v[46:47], v[18:19], s[20:21]
	v_mul_f64 v[48:49], v[20:21], s[20:21]
	v_fmac_f64_e32 v[50:51], s[24:25], v[26:27]
	v_mov_b64_e32 v[26:27], v[8:9]
	v_fmac_f64_e32 v[26:27], s[24:25], v[28:29]
	v_fma_f64 v[28:29], v[38:39], s[26:27], -v[34:35]
	v_fma_f64 v[34:35], v[40:41], s[26:27], -v[36:37]
	;; [unrolled: 1-line block ×3, first 2 shown]
	v_fmac_f64_e32 v[30:31], s[8:9], v[14:15]
	v_fma_f64 v[14:15], v[40:41], s[28:29], -v[32:33]
	v_fma_f64 v[46:47], v[22:23], s[36:37], -v[46:47]
	;; [unrolled: 1-line block ×3, first 2 shown]
	v_fmac_f64_e32 v[32:33], s[8:9], v[16:17]
	v_fma_f64 v[38:39], v[18:19], s[20:21], -v[42:43]
	v_fmac_f64_e32 v[42:43], s[30:31], v[22:23]
	v_fma_f64 v[40:41], v[20:21], s[20:21], -v[44:45]
	v_fmac_f64_e32 v[44:45], s[30:31], v[24:25]
	v_add_f64 v[22:23], v[28:29], v[50:51]
	v_add_f64 v[24:25], v[34:35], v[26:27]
	;; [unrolled: 1-line block ×4, first 2 shown]
	v_fmac_f64_e32 v[46:47], s[34:35], v[10:11]
	v_fmac_f64_e32 v[48:49], s[34:35], v[12:13]
	v_add_f64 v[30:31], v[30:31], v[50:51]
	v_add_f64 v[32:33], v[32:33], v[26:27]
	v_fmac_f64_e32 v[42:43], s[34:35], v[10:11]
	v_fmac_f64_e32 v[44:45], s[34:35], v[12:13]
	;; [unrolled: 1-line block ×4, first 2 shown]
	v_add_f64 v[14:15], v[28:29], v[48:49]
	v_add_f64 v[16:17], v[34:35], -v[46:47]
	v_add_f64 v[26:27], v[28:29], -v[48:49]
	v_add_f64 v[28:29], v[46:47], v[34:35]
	v_mad_u32_u24 v34, v2, s3, v1
	v_add_f64 v[10:11], v[30:31], v[44:45]
	v_add_f64 v[12:13], v[32:33], -v[42:43]
	v_add_f64 v[18:19], v[22:23], -v[40:41]
	v_add_f64 v[20:21], v[38:39], v[24:25]
	v_add_f64 v[22:23], v[22:23], v[40:41]
	v_add_f64 v[24:25], v[24:25], -v[38:39]
	v_add_f64 v[30:31], v[30:31], -v[44:45]
	v_add_f64 v[32:33], v[42:43], v[32:33]
	s_barrier
	ds_write_b128 v34, v[6:9]
	ds_write_b128 v34, v[10:13] offset:80
	ds_write_b128 v34, v[14:17] offset:160
	;; [unrolled: 1-line block ×6, first 2 shown]
	v_mul_lo_u16_e32 v6, 37, v2
	v_lshrrev_b16_e32 v54, 8, v6
	v_mul_lo_u16_e32 v6, 7, v54
	v_sub_u16_e32 v6, v2, v6
	v_and_b32_e32 v55, 0xff, v6
	v_mul_u32_u24_e32 v6, 6, v55
	v_lshlrev_b32_e32 v30, 4, v6
	s_waitcnt lgkmcnt(0)
	s_barrier
	global_load_dwordx4 v[6:9], v30, s[4:5]
	global_load_dwordx4 v[10:13], v30, s[4:5] offset:16
	global_load_dwordx4 v[14:17], v30, s[4:5] offset:32
	;; [unrolled: 1-line block ×5, first 2 shown]
	ds_read_b128 v[30:33], v1 offset:3920
	ds_read_b128 v[34:37], v1
	ds_read_b128 v[38:41], v1 offset:7840
	ds_read_b128 v[42:45], v1 offset:11760
	s_mov_b32 s3, s17
	s_waitcnt vmcnt(5) lgkmcnt(3)
	v_mul_f64 v[46:47], v[32:33], v[8:9]
	v_mul_f64 v[8:9], v[30:31], v[8:9]
	v_fmac_f64_e32 v[46:47], v[30:31], v[6:7]
	v_fma_f64 v[48:49], v[32:33], v[6:7], -v[8:9]
	ds_read_b128 v[6:9], v1 offset:15680
	ds_read_b128 v[30:33], v1 offset:19600
	s_waitcnt vmcnt(4) lgkmcnt(3)
	v_mul_f64 v[50:51], v[40:41], v[12:13]
	v_mul_f64 v[12:13], v[38:39], v[12:13]
	v_fmac_f64_e32 v[50:51], v[38:39], v[10:11]
	v_fma_f64 v[38:39], v[40:41], v[10:11], -v[12:13]
	ds_read_b128 v[10:13], v1 offset:23520
	s_waitcnt vmcnt(3) lgkmcnt(3)
	v_mul_f64 v[40:41], v[44:45], v[16:17]
	v_mul_f64 v[16:17], v[42:43], v[16:17]
	v_fmac_f64_e32 v[40:41], v[42:43], v[14:15]
	v_fma_f64 v[14:15], v[44:45], v[14:15], -v[16:17]
	s_waitcnt vmcnt(2) lgkmcnt(2)
	v_mul_f64 v[16:17], v[8:9], v[20:21]
	v_fmac_f64_e32 v[16:17], v[6:7], v[18:19]
	v_mul_f64 v[6:7], v[6:7], v[20:21]
	v_fma_f64 v[6:7], v[8:9], v[18:19], -v[6:7]
	s_waitcnt vmcnt(1) lgkmcnt(1)
	v_mul_f64 v[8:9], v[32:33], v[24:25]
	s_waitcnt vmcnt(0) lgkmcnt(0)
	v_mul_f64 v[20:21], v[12:13], v[28:29]
	v_fmac_f64_e32 v[8:9], v[30:31], v[22:23]
	v_mul_f64 v[18:19], v[30:31], v[24:25]
	v_fmac_f64_e32 v[20:21], v[10:11], v[26:27]
	v_mul_f64 v[10:11], v[10:11], v[28:29]
	v_fma_f64 v[18:19], v[32:33], v[22:23], -v[18:19]
	v_fma_f64 v[10:11], v[12:13], v[26:27], -v[10:11]
	v_add_f64 v[12:13], v[46:47], v[20:21]
	v_add_f64 v[24:25], v[50:51], v[8:9]
	;; [unrolled: 1-line block ×6, first 2 shown]
	v_add_f64 v[6:7], v[6:7], -v[14:15]
	v_add_f64 v[14:15], v[24:25], v[12:13]
	v_add_f64 v[10:11], v[48:49], -v[10:11]
	v_add_f64 v[8:9], v[50:51], -v[8:9]
	;; [unrolled: 1-line block ×4, first 2 shown]
	v_add_f64 v[32:33], v[26:27], v[22:23]
	v_add_f64 v[14:15], v[28:29], v[14:15]
	v_add_f64 v[20:21], v[46:47], -v[20:21]
	v_add_f64 v[38:39], v[24:25], -v[12:13]
	;; [unrolled: 1-line block ×4, first 2 shown]
	v_add_f64 v[44:45], v[6:7], v[18:19]
	v_add_f64 v[46:47], v[16:17], -v[8:9]
	v_add_f64 v[48:49], v[6:7], -v[18:19]
	v_add_f64 v[50:51], v[10:11], -v[6:7]
	v_add_f64 v[28:29], v[30:31], v[32:33]
	v_add_f64 v[6:7], v[34:35], v[14:15]
	v_add_f64 v[40:41], v[26:27], -v[22:23]
	v_add_f64 v[22:23], v[22:23], -v[30:31]
	;; [unrolled: 1-line block ×3, first 2 shown]
	v_add_f64 v[42:43], v[16:17], v[8:9]
	v_add_f64 v[52:53], v[8:9], -v[20:21]
	v_add_f64 v[8:9], v[36:37], v[28:29]
	v_mul_f64 v[34:35], v[46:47], s[22:23]
	v_mov_b64_e32 v[46:47], v[6:7]
	v_add_f64 v[16:17], v[20:21], -v[16:17]
	v_add_f64 v[20:21], v[42:43], v[20:21]
	v_mul_f64 v[12:13], v[12:13], s[12:13]
	v_mul_f64 v[22:23], v[22:23], s[12:13]
	;; [unrolled: 1-line block ×5, first 2 shown]
	v_fmac_f64_e32 v[46:47], s[24:25], v[14:15]
	v_mov_b64_e32 v[14:15], v[8:9]
	v_add_f64 v[18:19], v[18:19], -v[10:11]
	v_fmac_f64_e32 v[14:15], s[24:25], v[28:29]
	v_fma_f64 v[28:29], v[38:39], s[26:27], -v[30:31]
	v_fma_f64 v[30:31], v[40:41], s[26:27], -v[32:33]
	;; [unrolled: 1-line block ×3, first 2 shown]
	v_fmac_f64_e32 v[12:13], s[8:9], v[24:25]
	v_fma_f64 v[24:25], v[40:41], s[28:29], -v[22:23]
	v_fmac_f64_e32 v[22:23], s[8:9], v[26:27]
	v_fma_f64 v[26:27], v[52:53], s[20:21], -v[34:35]
	;; [unrolled: 2-line block ×3, first 2 shown]
	v_add_f64 v[10:11], v[44:45], v[10:11]
	v_mul_f64 v[36:37], v[48:49], s[22:23]
	v_mul_f64 v[44:45], v[18:19], s[20:21]
	v_add_f64 v[48:49], v[22:23], v[14:15]
	v_add_f64 v[22:23], v[28:29], v[46:47]
	;; [unrolled: 1-line block ×5, first 2 shown]
	v_fmac_f64_e32 v[34:35], s[34:35], v[20:21]
	v_fmac_f64_e32 v[26:27], s[34:35], v[20:21]
	;; [unrolled: 1-line block ×3, first 2 shown]
	v_fma_f64 v[42:43], v[50:51], s[36:37], -v[44:45]
	v_add_f64 v[44:45], v[12:13], v[46:47]
	v_add_f64 v[12:13], v[48:49], -v[34:35]
	v_add_f64 v[16:17], v[32:33], -v[40:41]
	v_add_f64 v[20:21], v[26:27], v[28:29]
	v_add_f64 v[24:25], v[28:29], -v[26:27]
	v_add_f64 v[28:29], v[40:41], v[32:33]
	v_add_f64 v[32:33], v[34:35], v[48:49]
	v_mad_u32_u24 v34, v54, 49, v55
	v_fma_f64 v[38:39], v[18:19], s[20:21], -v[36:37]
	v_fmac_f64_e32 v[36:37], s[30:31], v[50:51]
	v_mul_u32_u24_e32 v34, 0x50, v34
	v_fmac_f64_e32 v[36:37], s[34:35], v[10:11]
	v_fmac_f64_e32 v[38:39], s[34:35], v[10:11]
	;; [unrolled: 1-line block ×3, first 2 shown]
	v_add3_u32 v5, 0, v34, v5
	v_add_f64 v[10:11], v[36:37], v[44:45]
	v_add_f64 v[14:15], v[42:43], v[30:31]
	v_add_f64 v[18:19], v[22:23], -v[38:39]
	v_add_f64 v[22:23], v[38:39], v[22:23]
	v_add_f64 v[26:27], v[30:31], -v[42:43]
	v_add_f64 v[30:31], v[44:45], -v[36:37]
	s_barrier
	ds_write_b128 v5, v[6:9]
	ds_write_b128 v5, v[10:13] offset:560
	ds_write_b128 v5, v[14:17] offset:1120
	;; [unrolled: 1-line block ×6, first 2 shown]
	v_mul_lo_u16_e32 v5, 21, v2
	v_lshrrev_b16_e32 v5, 10, v5
	v_mul_lo_u16_e32 v5, 49, v5
	v_sub_u16_e32 v2, v2, v5
	v_mov_b32_e32 v5, 6
	v_mul_u32_u24_sdwa v5, v2, v5 dst_sel:DWORD dst_unused:UNUSED_PAD src0_sel:BYTE_0 src1_sel:DWORD
	v_lshlrev_b32_e32 v5, 4, v5
	s_waitcnt lgkmcnt(0)
	s_barrier
	global_load_dwordx4 v[6:9], v5, s[4:5] offset:672
	global_load_dwordx4 v[10:13], v5, s[4:5] offset:688
	;; [unrolled: 1-line block ×6, first 2 shown]
	ds_read_b128 v[30:33], v1
	ds_read_b128 v[34:37], v1 offset:3920
	ds_read_b128 v[38:41], v1 offset:7840
	;; [unrolled: 1-line block ×5, first 2 shown]
	v_mov_b32_e32 v5, v3
	v_lshl_add_u64 v[4:5], s[6:7], 0, v[4:5]
	v_add_u32_sdwa v0, v2, v0 dst_sel:DWORD dst_unused:UNUSED_PAD src0_sel:BYTE_0 src1_sel:DWORD
	v_mul_lo_u32 v2, v0, s16
	s_mul_i32 s16, s16, 49
	s_waitcnt vmcnt(5) lgkmcnt(4)
	v_mul_f64 v[54:55], v[36:37], v[8:9]
	v_mul_f64 v[8:9], v[34:35], v[8:9]
	v_fmac_f64_e32 v[54:55], v[34:35], v[6:7]
	v_fma_f64 v[34:35], v[36:37], v[6:7], -v[8:9]
	ds_read_b128 v[6:9], v1 offset:23520
	s_waitcnt vmcnt(4) lgkmcnt(4)
	v_mul_f64 v[36:37], v[40:41], v[12:13]
	v_mul_f64 v[12:13], v[38:39], v[12:13]
	v_fmac_f64_e32 v[36:37], v[38:39], v[10:11]
	v_fma_f64 v[10:11], v[40:41], v[10:11], -v[12:13]
	s_waitcnt vmcnt(3) lgkmcnt(3)
	v_mul_f64 v[12:13], v[44:45], v[16:17]
	v_mul_f64 v[16:17], v[42:43], v[16:17]
	v_fmac_f64_e32 v[12:13], v[42:43], v[14:15]
	v_fma_f64 v[14:15], v[44:45], v[14:15], -v[16:17]
	;; [unrolled: 5-line block ×4, first 2 shown]
	s_waitcnt vmcnt(0) lgkmcnt(0)
	v_mul_f64 v[24:25], v[8:9], v[28:29]
	v_fmac_f64_e32 v[24:25], v[6:7], v[26:27]
	v_mul_f64 v[6:7], v[6:7], v[28:29]
	v_fma_f64 v[6:7], v[8:9], v[26:27], -v[6:7]
	v_add_f64 v[8:9], v[54:55], v[24:25]
	v_add_f64 v[28:29], v[36:37], v[20:21]
	;; [unrolled: 1-line block ×3, first 2 shown]
	v_add_f64 v[6:7], v[34:35], -v[6:7]
	v_add_f64 v[34:35], v[10:11], v[22:23]
	v_add_f64 v[20:21], v[36:37], -v[20:21]
	v_add_f64 v[10:11], v[10:11], -v[22:23]
	v_add_f64 v[22:23], v[12:13], v[16:17]
	v_add_f64 v[36:37], v[14:15], v[18:19]
	v_add_f64 v[12:13], v[16:17], -v[12:13]
	v_add_f64 v[14:15], v[18:19], -v[14:15]
	v_add_f64 v[16:17], v[28:29], v[8:9]
	v_add_f64 v[24:25], v[54:55], -v[24:25]
	v_add_f64 v[18:19], v[34:35], v[26:27]
	v_add_f64 v[38:39], v[28:29], -v[8:9]
	v_add_f64 v[42:43], v[8:9], -v[22:23]
	v_add_f64 v[8:9], v[12:13], v[20:21]
	v_add_f64 v[44:45], v[14:15], v[10:11]
	;; [unrolled: 1-line block ×3, first 2 shown]
	v_add_f64 v[28:29], v[22:23], -v[28:29]
	v_add_f64 v[46:47], v[12:13], -v[20:21]
	v_add_f64 v[48:49], v[14:15], -v[10:11]
	v_add_f64 v[12:13], v[24:25], -v[12:13]
	v_add_f64 v[14:15], v[6:7], -v[14:15]
	v_add_f64 v[20:21], v[20:21], -v[24:25]
	v_add_f64 v[10:11], v[10:11], -v[6:7]
	v_add_f64 v[18:19], v[36:37], v[18:19]
	v_add_f64 v[22:23], v[8:9], v[24:25]
	;; [unrolled: 1-line block ×4, first 2 shown]
	v_add_f64 v[40:41], v[34:35], -v[26:27]
	v_add_f64 v[26:27], v[26:27], -v[36:37]
	;; [unrolled: 1-line block ×3, first 2 shown]
	v_add_f64 v[8:9], v[32:33], v[18:19]
	v_mov_b64_e32 v[50:51], v[6:7]
	v_mul_f64 v[30:31], v[42:43], s[12:13]
	v_mul_f64 v[26:27], v[26:27], s[12:13]
	;; [unrolled: 1-line block ×6, first 2 shown]
	v_fmac_f64_e32 v[50:51], s[24:25], v[16:17]
	v_mov_b64_e32 v[16:17], v[8:9]
	v_mul_f64 v[44:45], v[48:49], s[22:23]
	v_mul_f64 v[48:49], v[10:11], s[20:21]
	v_fmac_f64_e32 v[16:17], s[24:25], v[18:19]
	v_fma_f64 v[18:19], s[8:9], v[28:29], v[30:31]
	v_fma_f64 v[28:29], v[38:39], s[26:27], -v[32:33]
	v_fma_f64 v[32:33], v[40:41], s[26:27], -v[36:37]
	;; [unrolled: 1-line block ×4, first 2 shown]
	v_fmac_f64_e32 v[26:27], s[8:9], v[34:35]
	v_fma_f64 v[34:35], s[30:31], v[12:13], v[42:43]
	v_fma_f64 v[38:39], v[20:21], s[20:21], -v[42:43]
	v_fma_f64 v[42:43], v[12:13], s[36:37], -v[46:47]
	;; [unrolled: 1-line block ×3, first 2 shown]
	v_fmac_f64_e32 v[44:45], s[30:31], v[14:15]
	v_fma_f64 v[46:47], v[14:15], s[36:37], -v[48:49]
	v_add_f64 v[52:53], v[26:27], v[16:17]
	v_add_f64 v[26:27], v[28:29], v[50:51]
	;; [unrolled: 1-line block ×4, first 2 shown]
	v_fmac_f64_e32 v[34:35], s[34:35], v[22:23]
	v_fmac_f64_e32 v[38:39], s[34:35], v[22:23]
	;; [unrolled: 1-line block ×6, first 2 shown]
	v_add_f64 v[12:13], v[52:53], -v[34:35]
	v_add_f64 v[16:17], v[32:33], -v[42:43]
	v_add_f64 v[20:21], v[38:39], v[28:29]
	v_add_f64 v[24:25], v[28:29], -v[38:39]
	v_add_f64 v[28:29], v[42:43], v[32:33]
	v_add_f64 v[32:33], v[34:35], v[52:53]
	v_mul_lo_u32 v1, v5, s0
	v_mul_lo_u32 v34, v4, s1
	v_mad_u64_u32 v[4:5], s[0:1], v4, s0, 0
	s_lshl_b64 s[0:1], s[14:15], 4
	s_add_u32 s4, s10, s0
	s_addc_u32 s5, s11, s1
	s_lshl_b64 s[0:1], s[2:3], 4
	s_add_u32 s0, s4, s0
	v_add3_u32 v5, v5, v34, v1
	s_addc_u32 s1, s5, s1
	v_lshl_add_u64 v[0:1], v[4:5], 4, s[0:1]
	v_add_f64 v[48:49], v[18:19], v[50:51]
	v_lshl_add_u64 v[4:5], v[2:3], 4, v[0:1]
	v_add_u32_e32 v2, s16, v2
	v_add_f64 v[30:31], v[30:31], v[50:51]
	v_add_f64 v[10:11], v[44:45], v[48:49]
	global_store_dwordx4 v[4:5], v[6:9], off
	v_lshl_add_u64 v[4:5], v[2:3], 4, v[0:1]
	v_add_u32_e32 v2, s16, v2
	v_add_f64 v[14:15], v[46:47], v[30:31]
	global_store_dwordx4 v[4:5], v[10:13], off
	v_lshl_add_u64 v[4:5], v[2:3], 4, v[0:1]
	v_add_u32_e32 v2, s16, v2
	v_add_f64 v[18:19], v[26:27], -v[40:41]
	global_store_dwordx4 v[4:5], v[14:17], off
	v_lshl_add_u64 v[4:5], v[2:3], 4, v[0:1]
	v_add_u32_e32 v2, s16, v2
	v_add_f64 v[22:23], v[40:41], v[26:27]
	global_store_dwordx4 v[4:5], v[18:21], off
	v_lshl_add_u64 v[4:5], v[2:3], 4, v[0:1]
	v_add_u32_e32 v2, s16, v2
	global_store_dwordx4 v[4:5], v[22:25], off
	v_lshl_add_u64 v[4:5], v[2:3], 4, v[0:1]
	v_add_u32_e32 v2, s16, v2
	v_add_f64 v[26:27], v[30:31], -v[46:47]
	v_add_f64 v[30:31], v[48:49], -v[44:45]
	v_lshl_add_u64 v[0:1], v[2:3], 4, v[0:1]
	global_store_dwordx4 v[4:5], v[26:29], off
	global_store_dwordx4 v[0:1], v[30:33], off
	s_endpgm
	.section	.rodata,"a",@progbits
	.p2align	6, 0x0
	.amdhsa_kernel fft_rtc_back_len343_factors_7_7_7_wgs_245_tpt_49_dp_op_CI_CI_sbrc_z_xy_diag_dirReg
		.amdhsa_group_segment_fixed_size 0
		.amdhsa_private_segment_fixed_size 0
		.amdhsa_kernarg_size 104
		.amdhsa_user_sgpr_count 2
		.amdhsa_user_sgpr_dispatch_ptr 0
		.amdhsa_user_sgpr_queue_ptr 0
		.amdhsa_user_sgpr_kernarg_segment_ptr 1
		.amdhsa_user_sgpr_dispatch_id 0
		.amdhsa_user_sgpr_kernarg_preload_length 0
		.amdhsa_user_sgpr_kernarg_preload_offset 0
		.amdhsa_user_sgpr_private_segment_size 0
		.amdhsa_uses_dynamic_stack 0
		.amdhsa_enable_private_segment 0
		.amdhsa_system_sgpr_workgroup_id_x 1
		.amdhsa_system_sgpr_workgroup_id_y 0
		.amdhsa_system_sgpr_workgroup_id_z 0
		.amdhsa_system_sgpr_workgroup_info 0
		.amdhsa_system_vgpr_workitem_id 0
		.amdhsa_next_free_vgpr 56
		.amdhsa_next_free_sgpr 39
		.amdhsa_accum_offset 56
		.amdhsa_reserve_vcc 0
		.amdhsa_float_round_mode_32 0
		.amdhsa_float_round_mode_16_64 0
		.amdhsa_float_denorm_mode_32 3
		.amdhsa_float_denorm_mode_16_64 3
		.amdhsa_dx10_clamp 1
		.amdhsa_ieee_mode 1
		.amdhsa_fp16_overflow 0
		.amdhsa_tg_split 0
		.amdhsa_exception_fp_ieee_invalid_op 0
		.amdhsa_exception_fp_denorm_src 0
		.amdhsa_exception_fp_ieee_div_zero 0
		.amdhsa_exception_fp_ieee_overflow 0
		.amdhsa_exception_fp_ieee_underflow 0
		.amdhsa_exception_fp_ieee_inexact 0
		.amdhsa_exception_int_div_zero 0
	.end_amdhsa_kernel
	.text
.Lfunc_end0:
	.size	fft_rtc_back_len343_factors_7_7_7_wgs_245_tpt_49_dp_op_CI_CI_sbrc_z_xy_diag_dirReg, .Lfunc_end0-fft_rtc_back_len343_factors_7_7_7_wgs_245_tpt_49_dp_op_CI_CI_sbrc_z_xy_diag_dirReg
                                        ; -- End function
	.section	.AMDGPU.csdata,"",@progbits
; Kernel info:
; codeLenInByte = 4368
; NumSgprs: 45
; NumVgprs: 56
; NumAgprs: 0
; TotalNumVgprs: 56
; ScratchSize: 0
; MemoryBound: 0
; FloatMode: 240
; IeeeMode: 1
; LDSByteSize: 0 bytes/workgroup (compile time only)
; SGPRBlocks: 5
; VGPRBlocks: 6
; NumSGPRsForWavesPerEU: 45
; NumVGPRsForWavesPerEU: 56
; AccumOffset: 56
; Occupancy: 8
; WaveLimiterHint : 1
; COMPUTE_PGM_RSRC2:SCRATCH_EN: 0
; COMPUTE_PGM_RSRC2:USER_SGPR: 2
; COMPUTE_PGM_RSRC2:TRAP_HANDLER: 0
; COMPUTE_PGM_RSRC2:TGID_X_EN: 1
; COMPUTE_PGM_RSRC2:TGID_Y_EN: 0
; COMPUTE_PGM_RSRC2:TGID_Z_EN: 0
; COMPUTE_PGM_RSRC2:TIDIG_COMP_CNT: 0
; COMPUTE_PGM_RSRC3_GFX90A:ACCUM_OFFSET: 13
; COMPUTE_PGM_RSRC3_GFX90A:TG_SPLIT: 0
	.text
	.p2alignl 6, 3212836864
	.fill 256, 4, 3212836864
	.type	__hip_cuid_874f77755931e9f1,@object ; @__hip_cuid_874f77755931e9f1
	.section	.bss,"aw",@nobits
	.globl	__hip_cuid_874f77755931e9f1
__hip_cuid_874f77755931e9f1:
	.byte	0                               ; 0x0
	.size	__hip_cuid_874f77755931e9f1, 1

	.ident	"AMD clang version 19.0.0git (https://github.com/RadeonOpenCompute/llvm-project roc-6.4.0 25133 c7fe45cf4b819c5991fe208aaa96edf142730f1d)"
	.section	".note.GNU-stack","",@progbits
	.addrsig
	.addrsig_sym __hip_cuid_874f77755931e9f1
	.amdgpu_metadata
---
amdhsa.kernels:
  - .agpr_count:     0
    .args:
      - .actual_access:  read_only
        .address_space:  global
        .offset:         0
        .size:           8
        .value_kind:     global_buffer
      - .offset:         8
        .size:           8
        .value_kind:     by_value
      - .actual_access:  read_only
        .address_space:  global
        .offset:         16
        .size:           8
        .value_kind:     global_buffer
      - .actual_access:  read_only
        .address_space:  global
        .offset:         24
        .size:           8
        .value_kind:     global_buffer
      - .actual_access:  read_only
        .address_space:  global
        .offset:         32
        .size:           8
        .value_kind:     global_buffer
      - .offset:         40
        .size:           8
        .value_kind:     by_value
      - .actual_access:  read_only
        .address_space:  global
        .offset:         48
        .size:           8
        .value_kind:     global_buffer
      - .actual_access:  read_only
        .address_space:  global
        .offset:         56
        .size:           8
        .value_kind:     global_buffer
      - .offset:         64
        .size:           4
        .value_kind:     by_value
      - .actual_access:  read_only
        .address_space:  global
        .offset:         72
        .size:           8
        .value_kind:     global_buffer
      - .actual_access:  read_only
        .address_space:  global
        .offset:         80
        .size:           8
        .value_kind:     global_buffer
      - .actual_access:  read_only
        .address_space:  global
        .offset:         88
        .size:           8
        .value_kind:     global_buffer
      - .actual_access:  write_only
        .address_space:  global
        .offset:         96
        .size:           8
        .value_kind:     global_buffer
    .group_segment_fixed_size: 0
    .kernarg_segment_align: 8
    .kernarg_segment_size: 104
    .language:       OpenCL C
    .language_version:
      - 2
      - 0
    .max_flat_workgroup_size: 245
    .name:           fft_rtc_back_len343_factors_7_7_7_wgs_245_tpt_49_dp_op_CI_CI_sbrc_z_xy_diag_dirReg
    .private_segment_fixed_size: 0
    .sgpr_count:     45
    .sgpr_spill_count: 0
    .symbol:         fft_rtc_back_len343_factors_7_7_7_wgs_245_tpt_49_dp_op_CI_CI_sbrc_z_xy_diag_dirReg.kd
    .uniform_work_group_size: 1
    .uses_dynamic_stack: false
    .vgpr_count:     56
    .vgpr_spill_count: 0
    .wavefront_size: 64
amdhsa.target:   amdgcn-amd-amdhsa--gfx950
amdhsa.version:
  - 1
  - 2
...

	.end_amdgpu_metadata
